;; amdgpu-corpus repo=zjin-lcf/HeCBench kind=compiled arch=gfx1250 opt=O3
	.amdgcn_target "amdgcn-amd-amdhsa--gfx1250"
	.amdhsa_code_object_version 6
	.text
	.protected	_Z28Pathcalc_Portfolio_KernelGPUPfS_PKfPKiS1_fiii ; -- Begin function _Z28Pathcalc_Portfolio_KernelGPUPfS_PKfPKiS1_fiii
	.globl	_Z28Pathcalc_Portfolio_KernelGPUPfS_PKfPKiS1_fiii
	.p2align	8
	.type	_Z28Pathcalc_Portfolio_KernelGPUPfS_PKfPKiS1_fiii,@function
_Z28Pathcalc_Portfolio_KernelGPUPfS_PKfPKiS1_fiii: ; @_Z28Pathcalc_Portfolio_KernelGPUPfS_PKfPKiS1_fiii
; %bb.0:
	s_load_b32 s2, s[0:1], 0x44
	s_bfe_u32 s3, ttmp6, 0x4000c
	s_and_b32 s4, ttmp6, 15
	s_add_co_i32 s3, s3, 1
	s_getreg_b32 s5, hwreg(HW_REG_IB_STS2, 6, 4)
	s_mul_i32 s3, ttmp9, s3
	s_mov_b32 s12, 0
	s_add_co_i32 s4, s4, s3
	s_wait_kmcnt 0x0
	s_and_b32 s20, s2, 0xffff
	s_cmp_eq_u32 s5, 0
	s_cselect_b32 s2, ttmp9, s4
	s_delay_alu instid0(SALU_CYCLE_1) | instskip(SKIP_1) | instid1(VALU_DEP_1)
	v_mad_u32 v4, s2, s20, v0
	s_mov_b32 s2, exec_lo
	v_cmpx_gt_i32_e32 0x17700, v4
	s_cbranch_execz .LBB0_62
; %bb.1:
	s_load_b128 s[16:19], s[0:1], 0x28
	v_mov_b64_e32 v[6:7], 0x3e99999a3e99999a
	v_mov_b64_e32 v[8:9], 0x3d4ccccd3d4ccccd
	v_mov_b32_e32 v13, 0x3e99999a
	v_mov_b32_e32 v14, 0x3d4ccccd
	s_movk_i32 s47, 0x27c
	s_wait_kmcnt 0x0
	s_mul_f32 s2, s16, 0x4f800000
	s_cmp_lt_f32 s16, 0xf800000
	s_delay_alu instid0(SALU_CYCLE_2) | instskip(NEXT) | instid1(SALU_CYCLE_1)
	s_cselect_b32 s15, s2, s16
	v_s_sqrt_f32 s2, s15
	s_mov_b32 s4, s15
	v_cmp_class_f32_e64 s22, s15, 0x260
	s_delay_alu instid0(TRANS32_DEP_1) | instskip(NEXT) | instid1(SALU_CYCLE_1)
	s_add_co_i32 s3, s2, -1
	s_xor_b32 s5, s3, 0x80000000
	s_delay_alu instid0(SALU_CYCLE_1) | instskip(NEXT) | instid1(SALU_CYCLE_3)
	s_fmac_f32 s4, s5, s2
	s_cmp_le_f32 s4, 0
	s_cselect_b32 s13, s3, s2
	s_add_co_i32 s14, s2, 1
	s_mov_b32 s3, s15
	s_xor_b32 s4, s14, 0x80000000
	s_delay_alu instid0(SALU_CYCLE_1) | instskip(NEXT) | instid1(SALU_CYCLE_3)
	s_fmac_f32 s3, s4, s2
	s_cmp_gt_f32 s3, 0
	s_clause 0x1
	s_load_b64 s[2:3], s[0:1], 0x20
	s_load_b256 s[4:11], s[0:1], 0x0
	s_wait_xcnt 0x0
	s_add_nc_u64 s[0:1], s[0:1], 56
	s_cselect_b32 s14, s14, s13
	s_cmp_lt_f32 s16, 0xf800000
	s_mul_f32 s21, s14, 0x37800000
	s_mov_b32 s13, s12
	s_load_b32 s36, s[0:1], 0x0
	s_wait_xcnt 0x0
	s_mul_i32 s0, s18, s17
	s_cselect_b32 s21, s21, s14
	s_cmp_gt_i32 s18, 0
	s_mov_b32 s14, s12
	s_cselect_b32 s24, -1, 0
	s_cmp_gt_i32 s17, 0
	s_cselect_b32 s25, -1, 0
	s_and_b32 s22, s22, exec_lo
	s_cselect_b32 s26, s15, s21
	s_sub_co_i32 s27, s18, s17
	s_mov_b32 s15, s12
	s_cmp_gt_i32 s27, 0
	v_mov_b64_e32 v[0:1], s[12:13]
	s_cselect_b32 s28, -1, 0
	s_lshl_b32 s29, s17, 2
	v_mov_b64_e32 v[2:3], s[14:15]
	s_add_co_i32 s30, s29, 0x280
	s_cmp_gt_i32 s19, 0
	s_wait_kmcnt 0x0
	s_mul_i32 s36, s36, s20
	s_cselect_b32 s31, -1, 0
	s_cmp_gt_i32 s18, s17
	s_mov_b32 s14, s16
	s_cselect_b32 s13, -1, 0
	s_cmp_lg_u32 s18, 1
	s_mov_b32 s15, s16
	s_cselect_b32 s33, -1, 0
	s_and_b32 s34, s18, 0x7ffffffe
	s_delay_alu instid0(SALU_CYCLE_1) | instskip(SKIP_4) | instid1(SALU_CYCLE_1)
	s_cmp_lg_u32 s18, s34
	s_cselect_b32 s35, -1, 0
	s_cmp_lg_u32 s17, 1
	s_cselect_b32 s37, -1, 0
	s_and_b32 s38, s17, 0x7ffffffe
	s_cmp_lg_u32 s17, s38
	s_cselect_b32 s39, -1, 0
	s_cmp_gt_u32 s27, 1
	s_cselect_b32 s40, -1, 0
	s_and_b32 s41, s27, -2
	s_delay_alu instid0(SALU_CYCLE_1)
	s_add_co_i32 s42, s17, s41
	s_cmp_lg_u32 s27, s41
	s_cselect_b32 s43, -1, 0
	s_lshl_b32 s0, s0, 2
	s_add_co_i32 s20, s29, 4
	s_lshl_b32 s44, s18, 2
	s_add_co_i32 s56, s0, 0x3c0
	s_mul_i32 s0, s18, s20
	s_add_co_i32 s46, s18, -1
	s_xor_b32 s1, s29, -4
	s_add_co_i32 s49, s44, 4
	s_add_co_i32 s57, s0, 0x3c0
	s_or_b32 s45, 0x280, 4
	s_add_co_i32 s48, s27, 1
	s_mov_b32 s50, s1
	s_add_co_i32 s51, s1, 0x140
	s_add_co_i32 s52, s1, 0x1e0
	s_sub_co_i32 s53, 0, s44
	s_add_co_i32 s54, s47, s44
	s_add_co_i32 s55, s49, 0x3c0
	s_add_co_i32 s56, s56, -4
	s_add_co_i32 s57, s57, -4
	s_sub_co_i32 s58, s46, s17
	s_branch .LBB0_3
.LBB0_2:                                ;   in Loop: Header=BB0_3 Depth=1
	scratch_load_b32 v12, off, off offset:956
	v_ashrrev_i32_e32 v5, 31, v4
	s_delay_alu instid0(VALU_DEP_1) | instskip(SKIP_2) | instid1(VALU_DEP_1)
	v_lshl_add_u64 v[10:11], v[4:5], 2, s[6:7]
	s_wait_xcnt 0x1
	v_add_nc_u32_e32 v4, s36, v4
	v_cmp_lt_i32_e32 vcc_lo, 0x176ff, v4
	s_or_b32 s12, vcc_lo, s12
	s_wait_loadcnt 0x0
	global_store_b32 v[10:11], v12, off
	s_wait_xcnt 0x0
	s_and_not1_b32 exec_lo, exec_lo, s12
	s_cbranch_execz .LBB0_62
.LBB0_3:                                ; =>This Loop Header: Depth=1
                                        ;     Child Loop BB0_6 Depth 2
                                        ;     Child Loop BB0_10 Depth 2
	;; [unrolled: 1-line block ×5, first 2 shown]
                                        ;       Child Loop BB0_23 Depth 3
                                        ;     Child Loop BB0_26 Depth 2
                                        ;     Child Loop BB0_30 Depth 2
	;; [unrolled: 1-line block ×9, first 2 shown]
                                        ;       Child Loop BB0_61 Depth 3
	s_and_not1_b32 vcc_lo, exec_lo, s24
	s_cbranch_vccnz .LBB0_18
; %bb.4:                                ;   in Loop: Header=BB0_3 Depth=1
	s_and_not1_b32 vcc_lo, exec_lo, s33
	s_cbranch_vccnz .LBB0_8
; %bb.5:                                ;   in Loop: Header=BB0_3 Depth=1
	s_movk_i32 s0, 0x280
	s_movk_i32 s1, 0x3700
	s_mov_b32 s21, s34
.LBB0_6:                                ;   Parent Loop BB0_3 Depth=1
                                        ; =>  This Inner Loop Header: Depth=2
	s_delay_alu instid0(SALU_CYCLE_1)
	s_add_co_i32 s21, s21, -2
	scratch_store_b64 off, v[6:7], s1
	scratch_store_b64 off, v[8:9], s0
	s_wait_xcnt 0x0
	s_add_co_i32 s0, s0, 8
	s_add_co_i32 s1, s1, 8
	s_mov_b32 s20, s34
	s_cmp_lg_u32 s21, 0
	s_mov_b32 s22, s35
	s_cbranch_scc1 .LBB0_6
; %bb.7:                                ;   in Loop: Header=BB0_3 Depth=1
	s_and_b32 vcc_lo, exec_lo, s22
	s_cbranch_vccnz .LBB0_9
	s_branch .LBB0_11
.LBB0_8:                                ;   in Loop: Header=BB0_3 Depth=1
	s_mov_b32 s20, 0
	s_cbranch_execz .LBB0_11
.LBB0_9:                                ;   in Loop: Header=BB0_3 Depth=1
	s_lshl_b32 s21, s20, 2
	s_sub_co_i32 s0, s18, s20
	s_add_co_i32 s1, s21, 0x3700
	s_add_co_i32 s20, s21, 0x280
.LBB0_10:                               ;   Parent Loop BB0_3 Depth=1
                                        ; =>  This Inner Loop Header: Depth=2
	s_add_co_i32 s0, s0, -1
	scratch_store_b32 off, v13, s1
	scratch_store_b32 off, v14, s20
	s_wait_xcnt 0x1
	s_add_co_i32 s1, s1, 4
	s_wait_xcnt 0x0
	s_add_co_i32 s20, s20, 4
	s_cmp_lg_u32 s0, 0
	s_cbranch_scc1 .LBB0_10
.LBB0_11:                               ;   in Loop: Header=BB0_3 Depth=1
	s_and_not1_b32 vcc_lo, exec_lo, s33
	s_cbranch_vccnz .LBB0_15
; %bb.12:                               ;   in Loop: Header=BB0_3 Depth=1
	s_movk_i32 s0, 0x3c0
	s_movk_i32 s20, 0x280
	s_mov_b32 s21, s34
.LBB0_13:                               ;   Parent Loop BB0_3 Depth=1
                                        ; =>  This Inner Loop Header: Depth=2
	scratch_load_b64 v[10:11], off, s20
	s_add_co_i32 s21, s21, -2
	s_wait_xcnt 0x0
	s_add_co_i32 s20, s20, 8
	s_mov_b32 s1, s34
	s_mov_b32 s22, s35
	s_wait_loadcnt 0x0
	scratch_store_b64 off, v[10:11], s0
	s_wait_xcnt 0x0
	s_add_co_i32 s0, s0, 8
	s_cmp_lg_u32 s21, 0
	s_cbranch_scc1 .LBB0_13
; %bb.14:                               ;   in Loop: Header=BB0_3 Depth=1
	s_and_b32 vcc_lo, exec_lo, s22
	s_cbranch_vccnz .LBB0_16
	s_branch .LBB0_18
.LBB0_15:                               ;   in Loop: Header=BB0_3 Depth=1
	s_mov_b32 s1, 0
	s_cbranch_execz .LBB0_18
.LBB0_16:                               ;   in Loop: Header=BB0_3 Depth=1
	s_lshl_b32 s20, s1, 2
	s_sub_co_i32 s1, s18, s1
	s_add_co_i32 s0, s20, 0x3c0
	s_addk_co_i32 s20, 0x280
.LBB0_17:                               ;   Parent Loop BB0_3 Depth=1
                                        ; =>  This Inner Loop Header: Depth=2
	scratch_load_b32 v5, off, s20
	s_add_co_i32 s1, s1, -1
	s_wait_xcnt 0x0
	s_add_co_i32 s20, s20, 4
	s_wait_loadcnt 0x0
	scratch_store_b32 off, v5, s0
	s_wait_xcnt 0x0
	s_add_co_i32 s0, s0, 4
	s_cmp_eq_u32 s1, 0
	s_cbranch_scc0 .LBB0_17
.LBB0_18:                               ;   in Loop: Header=BB0_3 Depth=1
	s_and_not1_b32 vcc_lo, exec_lo, s25
	s_cbranch_vccnz .LBB0_24
; %bb.19:                               ;   in Loop: Header=BB0_3 Depth=1
	s_mov_b32 s21, 0
	s_mov_b32 s20, s46
	;; [unrolled: 1-line block ×4, first 2 shown]
	s_branch .LBB0_21
.LBB0_20:                               ;   in Loop: Header=BB0_21 Depth=2
	s_add_co_i32 s23, s23, s49
	s_add_co_i32 s22, s22, 4
	s_add_co_i32 s20, s20, -1
	s_cmp_eq_u32 s21, s17
	s_cbranch_scc1 .LBB0_24
.LBB0_21:                               ;   Parent Loop BB0_3 Depth=1
                                        ; =>  This Loop Header: Depth=2
                                        ;       Child Loop BB0_23 Depth 3
	s_mov_b32 s0, s21
	s_add_co_i32 s21, s21, 1
	s_delay_alu instid0(SALU_CYCLE_1)
	s_cmp_ge_i32 s21, s18
	s_cbranch_scc1 .LBB0_20
; %bb.22:                               ;   in Loop: Header=BB0_21 Depth=2
	s_lshl_b32 s0, s0, 2
	s_mov_b32 s59, s20
	s_addk_co_i32 s0, 0x3700
	s_mov_b32 s60, s22
	scratch_load_b32 v10, off, s0
	v_mov_b32_e32 v5, 0
	s_wait_xcnt 0x0
	s_mov_b64 s[0:1], s[8:9]
	s_mov_b32 s61, s23
	s_wait_loadcnt 0x0
	v_mul_f32_e32 v10, s26, v10
.LBB0_23:                               ;   Parent Loop BB0_3 Depth=1
                                        ;     Parent Loop BB0_21 Depth=2
                                        ; =>    This Inner Loop Header: Depth=3
	scratch_load_b32 v17, off, s60
	s_load_b32 s62, s[0:1], 0x0
	v_mov_b64_e32 v[18:19], s[14:15]
	s_add_co_i32 s59, s59, -1
	s_wait_xcnt 0x0
	s_add_nc_u64 s[0:1], s[0:1], 4
	s_wait_kmcnt 0x0
	v_mov_b32_e32 v16, s62
	s_wait_loadcnt 0x0
	s_delay_alu instid0(VALU_DEP_1) | instskip(NEXT) | instid1(VALU_DEP_1)
	v_pk_mul_f32 v[18:19], v[18:19], v[16:17]
	v_dual_mul_f32 v11, v18, v17 :: v_dual_add_f32 v12, 1.0, v19
	s_delay_alu instid0(VALU_DEP_1) | instskip(NEXT) | instid1(VALU_DEP_1)
	v_div_scale_f32 v15, null, v12, v12, v11
	v_rcp_f32_e32 v16, v15
	v_nop
	s_delay_alu instid0(TRANS32_DEP_1) | instskip(NEXT) | instid1(VALU_DEP_1)
	v_fma_f32 v19, -v15, v16, 1.0
	v_fmac_f32_e32 v16, v19, v16
	v_div_scale_f32 v20, vcc_lo, v11, v12, v11
	s_delay_alu instid0(VALU_DEP_1) | instskip(NEXT) | instid1(VALU_DEP_1)
	v_mul_f32_e32 v19, v20, v16
	v_fma_f32 v21, -v15, v19, v20
	s_delay_alu instid0(VALU_DEP_1) | instskip(NEXT) | instid1(VALU_DEP_1)
	v_fmac_f32_e32 v19, v21, v16
	v_fma_f32 v15, -v15, v19, v20
	s_delay_alu instid0(VALU_DEP_1) | instskip(NEXT) | instid1(VALU_DEP_1)
	v_div_fmas_f32 v15, v15, v16, v19
	v_div_fixup_f32 v11, v15, v12, v11
	s_delay_alu instid0(VALU_DEP_1) | instskip(NEXT) | instid1(VALU_DEP_1)
	v_dual_add_f32 v5, v5, v11 :: v_dual_fma_f32 v11, -0.5, v18, v10
	v_mul_f32_e32 v12, v18, v5
	s_delay_alu instid0(VALU_DEP_1) | instskip(NEXT) | instid1(VALU_DEP_1)
	v_fmac_f32_e32 v12, s62, v11
	v_mul_f32_e32 v11, 0x3fb8aa3b, v12
	s_delay_alu instid0(VALU_DEP_1) | instskip(SKIP_1) | instid1(TRANS32_DEP_1)
	v_exp_f32_e32 v11, v11
	v_nop
	v_mul_f32_e32 v11, v17, v11
	scratch_store_b32 off, v11, s60
	scratch_store_b32 off, v11, s61
	s_wait_xcnt 0x0
	s_add_co_i32 s61, s61, 4
	s_add_co_i32 s60, s60, 4
	s_cmp_eq_u32 s59, 0
	s_cbranch_scc0 .LBB0_23
	s_branch .LBB0_20
.LBB0_24:                               ;   in Loop: Header=BB0_3 Depth=1
	s_and_not1_b32 vcc_lo, exec_lo, s28
	s_cbranch_vccnz .LBB0_27
; %bb.25:                               ;   in Loop: Header=BB0_3 Depth=1
	v_dual_mov_b32 v5, 1.0 :: v_dual_mov_b32 v10, 0
	s_movk_i32 s0, 0xa0
	s_mov_b32 s1, 0
	s_mov_b32 s20, 0
	;; [unrolled: 1-line block ×3, first 2 shown]
.LBB0_26:                               ;   Parent Loop BB0_3 Depth=1
                                        ; =>  This Inner Loop Header: Depth=2
	scratch_load_b32 v11, off, s21
	s_add_co_i32 s20, s20, 1
	s_wait_xcnt 0x0
	s_add_co_i32 s21, s21, 4
	s_wait_loadcnt 0x0
	v_fma_f32 v11, s16, v11, 1.0
	s_delay_alu instid0(VALU_DEP_1) | instskip(SKIP_1) | instid1(VALU_DEP_2)
	v_div_scale_f32 v12, null, v11, v11, v5
	v_div_scale_f32 v17, vcc_lo, v5, v11, v5
	v_rcp_f32_e32 v15, v12
	v_nop
	s_delay_alu instid0(TRANS32_DEP_1) | instskip(NEXT) | instid1(VALU_DEP_1)
	v_fma_f32 v16, -v12, v15, 1.0
	v_fmac_f32_e32 v15, v16, v15
	s_delay_alu instid0(VALU_DEP_1) | instskip(NEXT) | instid1(VALU_DEP_1)
	v_mul_f32_e32 v16, v17, v15
	v_fma_f32 v18, -v12, v16, v17
	s_delay_alu instid0(VALU_DEP_1) | instskip(NEXT) | instid1(VALU_DEP_1)
	v_fmac_f32_e32 v16, v18, v15
	v_fma_f32 v12, -v12, v16, v17
	s_delay_alu instid0(VALU_DEP_1) | instskip(NEXT) | instid1(VALU_DEP_1)
	v_div_fmas_f32 v12, v12, v15, v16
	v_div_fixup_f32 v5, v12, v11, v5
	s_delay_alu instid0(VALU_DEP_1)
	v_fmac_f32_e32 v10, s16, v5
	scratch_store_b32 off, v5, s1
	s_wait_xcnt 0x0
	s_add_co_i32 s1, s1, 4
	scratch_store_b32 off, v10, s0
	s_wait_xcnt 0x0
	s_add_co_i32 s0, s0, 4
	s_cmp_ge_i32 s20, s27
	s_cbranch_scc0 .LBB0_26
.LBB0_27:                               ;   in Loop: Header=BB0_3 Depth=1
	v_mov_b32_e32 v5, 0
	s_and_not1_b32 vcc_lo, exec_lo, s31
	s_clause 0x13
	scratch_store_b128 off, v[0:3], off offset:320
	scratch_store_b128 off, v[0:3], off offset:336
	;; [unrolled: 1-line block ×20, first 2 shown]
	s_cbranch_vccnz .LBB0_32
; %bb.28:                               ;   in Loop: Header=BB0_3 Depth=1
	s_mov_b64 s[0:1], s[2:3]
	s_mov_b64 s[20:21], s[10:11]
	s_mov_b32 s22, s19
	s_branch .LBB0_30
.LBB0_29:                               ;   in Loop: Header=BB0_30 Depth=2
	s_wait_xcnt 0x0
	s_or_b32 exec_lo, exec_lo, s59
	s_add_co_i32 s22, s22, -1
	s_add_nc_u64 s[20:21], s[20:21], 4
	s_cmp_eq_u32 s22, 0
	s_add_nc_u64 s[0:1], s[0:1], 4
	s_cbranch_scc1 .LBB0_32
.LBB0_30:                               ;   Parent Loop BB0_3 Depth=1
                                        ; =>  This Inner Loop Header: Depth=2
	s_load_b32 s23, s[20:21], 0x0
	s_mov_b32 s59, exec_lo
	s_wait_kmcnt 0x0
	s_lshl_b32 s23, s23, 2
	s_delay_alu instid0(SALU_CYCLE_1)
	s_add_co_i32 s60, s23, 0xa0
	scratch_load_b32 v10, off, s23 offset:-4
	scratch_load_b32 v11, off, s60 offset:-4
	s_wait_xcnt 0x0
	s_load_b32 s60, s[0:1], 0x0
	s_wait_loadcnt 0x0
	s_wait_kmcnt 0x0
	v_fmac_f32_e32 v10, s60, v11
	s_delay_alu instid0(VALU_DEP_1) | instskip(NEXT) | instid1(VALU_DEP_1)
	v_add_f32_e32 v10, -1.0, v10
	v_cmpx_gt_f32_e32 0, v10
	s_cbranch_execz .LBB0_29
; %bb.31:                               ;   in Loop: Header=BB0_30 Depth=2
	s_add_co_i32 s61, s23, 0x1e0
	s_addk_co_i32 s23, 0x140
	scratch_load_b32 v11, off, s61 offset:-4
	scratch_load_b32 v12, off, s23 offset:-4
	v_fmac_f32_e32 v5, 0xc2c80000, v10
	s_wait_loadcnt 0x1
	v_fmac_f32_e64 v11, 0xc2c80000, s60
	s_wait_loadcnt 0x0
	v_add_f32_e32 v12, 0xc2c80000, v12
	scratch_store_b32 off, v11, s61 offset:-4
	scratch_store_b32 off, v12, s23 offset:-4
	s_branch .LBB0_29
.LBB0_32:                               ;   in Loop: Header=BB0_3 Depth=1
	s_mov_b32 s0, s52
	s_mov_b32 s1, s51
	;; [unrolled: 1-line block ×3, first 2 shown]
	s_and_not1_b32 vcc_lo, exec_lo, s28
	s_mov_b32 s21, s50
	s_mov_b32 s22, s47
	s_cbranch_vccz .LBB0_42
.LBB0_33:                               ;   in Loop: Header=BB0_3 Depth=1
	s_wait_xcnt 0x1
	v_mov_b32_e32 v10, 1.0
	s_and_not1_b32 vcc_lo, exec_lo, s25
	s_cbranch_vccnz .LBB0_36
; %bb.34:                               ;   in Loop: Header=BB0_3 Depth=1
	s_movk_i32 s0, 0x280
	s_mov_b32 s1, s17
.LBB0_35:                               ;   Parent Loop BB0_3 Depth=1
                                        ; =>  This Inner Loop Header: Depth=2
	scratch_load_b32 v11, off, s0
	s_add_co_i32 s1, s1, -1
	s_wait_xcnt 0x0
	s_add_co_i32 s0, s0, 4
	s_cmp_lg_u32 s1, 0
	s_wait_loadcnt 0x0
	v_fma_f32 v11, s16, v11, 1.0
	s_delay_alu instid0(VALU_DEP_1) | instskip(SKIP_1) | instid1(VALU_DEP_2)
	v_div_scale_f32 v12, null, v11, v11, v10
	v_div_scale_f32 v17, vcc_lo, v10, v11, v10
	v_rcp_f32_e32 v15, v12
	v_nop
	s_delay_alu instid0(TRANS32_DEP_1) | instskip(NEXT) | instid1(VALU_DEP_1)
	v_fma_f32 v16, -v12, v15, 1.0
	v_fmac_f32_e32 v15, v16, v15
	s_delay_alu instid0(VALU_DEP_1) | instskip(NEXT) | instid1(VALU_DEP_1)
	v_mul_f32_e32 v16, v17, v15
	v_fma_f32 v18, -v12, v16, v17
	s_delay_alu instid0(VALU_DEP_1) | instskip(NEXT) | instid1(VALU_DEP_1)
	v_fmac_f32_e32 v16, v18, v15
	v_fma_f32 v12, -v12, v16, v17
	s_delay_alu instid0(VALU_DEP_1) | instskip(NEXT) | instid1(VALU_DEP_1)
	v_div_fmas_f32 v12, v12, v15, v16
	v_div_fixup_f32 v10, v12, v11, v10
	s_cbranch_scc1 .LBB0_35
.LBB0_36:                               ;   in Loop: Header=BB0_3 Depth=1
	s_delay_alu instid0(VALU_DEP_1)
	v_mul_f32_e32 v15, v5, v10
	s_and_not1_b32 vcc_lo, exec_lo, s25
	s_cbranch_vccnz .LBB0_47
; %bb.37:                               ;   in Loop: Header=BB0_3 Depth=1
	s_wait_xcnt 0x0
	s_delay_alu instid0(VALU_DEP_1)
	v_mul_f32_e64 v12, s16, -v15
	s_and_not1_b32 vcc_lo, exec_lo, s37
	s_cbranch_vccnz .LBB0_44
; %bb.38:                               ;   in Loop: Header=BB0_3 Depth=1
	s_delay_alu instid0(VALU_DEP_1)
	v_mov_b32_e32 v5, v12
	s_movk_i32 s1, 0x280
	s_mov_b32 s20, s38
.LBB0_39:                               ;   Parent Loop BB0_3 Depth=1
                                        ; =>  This Inner Loop Header: Depth=2
	scratch_load_b64 v[16:17], off, s1
	v_mov_b64_e32 v[18:19], s[14:15]
	s_add_co_i32 s20, s20, -2
	s_mov_b32 s21, s38
	s_wait_loadcnt 0x0
	s_delay_alu instid0(VALU_DEP_1) | instskip(NEXT) | instid1(VALU_DEP_1)
	v_pk_fma_f32 v[16:17], v[18:19], v[16:17], 1.0 op_sel_hi:[1,1,0]
	v_div_scale_f32 v11, null, v17, v17, v5
	s_delay_alu instid0(VALU_DEP_2) | instskip(SKIP_1) | instid1(VALU_DEP_3)
	v_div_scale_f32 v18, null, v16, v16, v12
	v_div_scale_f32 v19, vcc_lo, v5, v17, v5
	v_rcp_f32_e32 v20, v11
	s_delay_alu instid0(VALU_DEP_2) | instskip(SKIP_1) | instid1(TRANS32_DEP_2)
	v_rcp_f32_e32 v21, v18
	v_div_scale_f32 v22, s0, v12, v16, v12
	v_fma_f32 v23, -v11, v20, 1.0
	s_delay_alu instid0(TRANS32_DEP_1) | instskip(NEXT) | instid1(VALU_DEP_1)
	v_fma_f32 v24, -v18, v21, 1.0
	v_dual_fmac_f32 v20, v23, v20 :: v_dual_fmac_f32 v21, v24, v21
	s_delay_alu instid0(VALU_DEP_1) | instskip(NEXT) | instid1(VALU_DEP_1)
	v_dual_mul_f32 v23, v19, v20 :: v_dual_mul_f32 v24, v22, v21
	v_dual_fma_f32 v25, -v11, v23, v19 :: v_dual_fma_f32 v26, -v18, v24, v22
	s_delay_alu instid0(VALU_DEP_1) | instskip(NEXT) | instid1(VALU_DEP_1)
	v_dual_fmac_f32 v23, v25, v20 :: v_dual_fmac_f32 v24, v26, v21
	v_dual_fma_f32 v11, -v11, v23, v19 :: v_dual_fma_f32 v18, -v18, v24, v22
	s_delay_alu instid0(VALU_DEP_1) | instskip(SKIP_2) | instid1(VALU_DEP_2)
	v_div_fmas_f32 v11, v11, v20, v23
	s_mov_b32 vcc_lo, s0
	s_mov_b32 s0, s39
	v_div_fmas_f32 v18, v18, v21, v24
	s_delay_alu instid0(VALU_DEP_2) | instskip(NEXT) | instid1(VALU_DEP_2)
	v_div_fixup_f32 v17, v11, v17, v5
	v_div_fixup_f32 v16, v18, v16, v12
	scratch_store_b64 off, v[16:17], s1
	s_wait_xcnt 0x0
	s_add_co_i32 s1, s1, 8
	s_cmp_lg_u32 s20, 0
	s_cbranch_scc1 .LBB0_39
; %bb.40:                               ;   in Loop: Header=BB0_3 Depth=1
	s_and_b32 vcc_lo, exec_lo, s0
	s_cbranch_vccnz .LBB0_45
	s_branch .LBB0_47
.LBB0_41:                               ;   in Loop: Header=BB0_42 Depth=2
	s_add_co_i32 s20, s20, -1
	s_add_co_i32 s22, s22, -4
	s_add_co_i32 s21, s21, -4
	s_add_co_i32 s1, s1, -4
	s_add_co_i32 s0, s0, -4
	s_cmp_lt_u32 s20, 2
	s_cbranch_scc1 .LBB0_33
.LBB0_42:                               ;   Parent Loop BB0_3 Depth=1
                                        ; =>  This Inner Loop Header: Depth=2
	s_wait_xcnt 0x0
	s_add_co_i32 s60, s22, s44
	s_add_co_i32 s23, s0, s44
	scratch_load_b32 v12, off, s60
	s_add_co_i32 s59, s1, s44
	scratch_load_b32 v10, off, s23
	scratch_load_b32 v11, off, s59
	s_add_co_i32 s61, s21, s44
	s_cmp_eq_u32 s20, 2
	scratch_load_b32 v15, off, s61
	s_wait_loadcnt 0x3
	v_fma_f32 v12, s16, v12, 1.0
	s_wait_loadcnt 0x1
	v_fmac_f32_e32 v11, s16, v10
	s_delay_alu instid0(VALU_DEP_2) | instskip(SKIP_1) | instid1(VALU_DEP_2)
	v_div_scale_f32 v16, null, v12, v12, s16
	s_wait_loadcnt 0x0
	v_mul_f32_e64 v15, v15, -v11
	s_delay_alu instid0(VALU_DEP_2) | instskip(SKIP_1) | instid1(TRANS32_DEP_1)
	v_rcp_f32_e32 v17, v16
	v_nop
	v_fma_f32 v18, -v16, v17, 1.0
	s_delay_alu instid0(VALU_DEP_1) | instskip(SKIP_1) | instid1(VALU_DEP_1)
	v_fmac_f32_e32 v17, v18, v17
	v_div_scale_f32 v18, vcc_lo, s16, v12, s16
	v_mul_f32_e32 v19, v18, v17
	s_delay_alu instid0(VALU_DEP_1) | instskip(NEXT) | instid1(VALU_DEP_1)
	v_fma_f32 v20, -v16, v19, v18
	v_fmac_f32_e32 v19, v20, v17
	s_delay_alu instid0(VALU_DEP_1) | instskip(NEXT) | instid1(VALU_DEP_1)
	v_fma_f32 v16, -v16, v19, v18
	v_div_fmas_f32 v16, v16, v17, v19
	s_delay_alu instid0(VALU_DEP_1) | instskip(NEXT) | instid1(VALU_DEP_1)
	v_div_fixup_f32 v12, v16, v12, s16
	v_mul_f32_e32 v12, v15, v12
	scratch_store_b32 off, v11, s59
	scratch_store_b32 off, v12, s60
	s_cbranch_scc1 .LBB0_41
; %bb.43:                               ;   in Loop: Header=BB0_42 Depth=2
	scratch_load_b32 v15, off, s23 offset:-4
	scratch_load_b32 v16, off, s59 offset:-4
	s_wait_xcnt 0x2
	v_fma_f32 v12, s16, v12, 1.0
	s_delay_alu instid0(VALU_DEP_1) | instskip(SKIP_1) | instid1(VALU_DEP_2)
	v_div_scale_f32 v17, null, v12, v12, v11
	v_div_scale_f32 v20, vcc_lo, v11, v12, v11
	v_rcp_f32_e32 v18, v17
	v_nop
	s_delay_alu instid0(TRANS32_DEP_1) | instskip(NEXT) | instid1(VALU_DEP_1)
	v_fma_f32 v19, -v17, v18, 1.0
	v_fmac_f32_e32 v18, v19, v18
	s_wait_loadcnt 0x1
	s_delay_alu instid0(VALU_DEP_1) | instskip(NEXT) | instid1(VALU_DEP_1)
	v_dual_mul_f32 v19, v20, v18 :: v_dual_add_f32 v10, v10, v15
	v_fma_f32 v21, -v17, v19, v20
	s_delay_alu instid0(VALU_DEP_1) | instskip(NEXT) | instid1(VALU_DEP_1)
	v_fmac_f32_e32 v19, v21, v18
	v_fma_f32 v17, -v17, v19, v20
	s_delay_alu instid0(VALU_DEP_1) | instskip(NEXT) | instid1(VALU_DEP_1)
	v_div_fmas_f32 v17, v17, v18, v19
	v_div_fixup_f32 v11, v17, v12, v11
	s_wait_loadcnt 0x0
	s_delay_alu instid0(VALU_DEP_1)
	v_add_f32_e32 v11, v11, v16
	scratch_store_b32 off, v10, s23 offset:-4
	scratch_store_b32 off, v11, s59 offset:-4
	s_branch .LBB0_41
.LBB0_44:                               ;   in Loop: Header=BB0_3 Depth=1
	s_mov_b32 s21, 0
	s_cbranch_execz .LBB0_47
.LBB0_45:                               ;   in Loop: Header=BB0_3 Depth=1
	s_lshl_b32 s0, s21, 2
	s_sub_co_i32 s1, s17, s21
	s_addk_co_i32 s0, 0x280
.LBB0_46:                               ;   Parent Loop BB0_3 Depth=1
                                        ; =>  This Inner Loop Header: Depth=2
	scratch_load_b32 v5, off, s0
	s_add_co_i32 s1, s1, -1
	s_wait_loadcnt 0x0
	v_fma_f32 v5, s16, v5, 1.0
	s_delay_alu instid0(VALU_DEP_1) | instskip(SKIP_1) | instid1(VALU_DEP_2)
	v_div_scale_f32 v11, null, v5, v5, v12
	v_div_scale_f32 v18, vcc_lo, v12, v5, v12
	v_rcp_f32_e32 v16, v11
	v_nop
	s_delay_alu instid0(TRANS32_DEP_1) | instskip(NEXT) | instid1(VALU_DEP_1)
	v_fma_f32 v17, -v11, v16, 1.0
	v_fmac_f32_e32 v16, v17, v16
	s_delay_alu instid0(VALU_DEP_1) | instskip(NEXT) | instid1(VALU_DEP_1)
	v_mul_f32_e32 v17, v18, v16
	v_fma_f32 v19, -v11, v17, v18
	s_delay_alu instid0(VALU_DEP_1) | instskip(NEXT) | instid1(VALU_DEP_1)
	v_fmac_f32_e32 v17, v19, v16
	v_fma_f32 v11, -v11, v17, v18
	s_delay_alu instid0(VALU_DEP_1) | instskip(NEXT) | instid1(VALU_DEP_1)
	v_div_fmas_f32 v11, v11, v16, v17
	v_div_fixup_f32 v5, v11, v5, v12
	scratch_store_b32 off, v5, s0
	s_wait_xcnt 0x0
	s_add_co_i32 s0, s0, 4
	s_cmp_eq_u32 s1, 0
	s_cbranch_scc0 .LBB0_46
.LBB0_47:                               ;   in Loop: Header=BB0_3 Depth=1
	s_and_not1_b32 vcc_lo, exec_lo, s13
	s_cbranch_vccnz .LBB0_57
; %bb.48:                               ;   in Loop: Header=BB0_3 Depth=1
	s_mov_b32 s20, -1
	s_and_not1_b32 vcc_lo, exec_lo, s40
	s_mov_b32 s0, s17
	s_mov_b32 s1, s29
	s_cbranch_vccnz .LBB0_54
; %bb.49:                               ;   in Loop: Header=BB0_3 Depth=1
	s_wait_xcnt 0x0
	v_mov_b32_e32 v11, v10
	s_mov_b32 s0, s41
	s_mov_b32 s1, s30
.LBB0_50:                               ;   Parent Loop BB0_3 Depth=1
                                        ; =>  This Inner Loop Header: Depth=2
	scratch_load_b64 v[16:17], off, s1
	s_add_co_i32 s0, s0, -2
	s_wait_loadcnt 0x0
	v_pk_mul_f32 v[16:17], v[10:11], v[16:17]
	scratch_store_b64 off, v[16:17], s1
	s_wait_xcnt 0x0
	s_add_co_i32 s1, s1, 8
	s_cmp_lg_u32 s0, 0
	s_cbranch_scc1 .LBB0_50
; %bb.51:                               ;   in Loop: Header=BB0_3 Depth=1
	s_and_not1_b32 vcc_lo, exec_lo, s43
	s_mov_b32 s20, 0
                                        ; implicit-def: $sgpr1
	s_cbranch_vccnz .LBB0_53
; %bb.52:                               ;   in Loop: Header=BB0_3 Depth=1
	s_lshl_b32 s1, s42, 2
	s_mov_b32 s20, -1
.LBB0_53:                               ;   in Loop: Header=BB0_3 Depth=1
	s_mov_b32 s0, s42
.LBB0_54:                               ;   in Loop: Header=BB0_3 Depth=1
	s_and_b32 vcc_lo, exec_lo, s20
	s_cbranch_vccz .LBB0_57
; %bb.55:                               ;   in Loop: Header=BB0_3 Depth=1
	s_addk_co_i32 s1, 0x280
.LBB0_56:                               ;   Parent Loop BB0_3 Depth=1
                                        ; =>  This Inner Loop Header: Depth=2
	scratch_load_b32 v5, off, s1
	s_add_co_i32 s0, s0, 1
	s_wait_loadcnt 0x0
	v_mul_f32_e32 v5, v10, v5
	scratch_store_b32 off, v5, s1
	s_wait_xcnt 0x0
	s_add_co_i32 s1, s1, 4
	s_cmp_lt_i32 s0, s18
	s_cbranch_scc1 .LBB0_56
.LBB0_57:                               ;   in Loop: Header=BB0_3 Depth=1
	s_mov_b32 s20, s58
	s_mov_b32 s1, s57
	s_and_not1_b32 vcc_lo, exec_lo, s25
	s_wait_xcnt 0x0
	s_mov_b32 s59, s56
	s_mov_b32 s60, s17
	global_store_b32 v4, v15, s[4:5] scale_offset
	s_cbranch_vccz .LBB0_59
	s_branch .LBB0_2
.LBB0_58:                               ;   in Loop: Header=BB0_59 Depth=2
	s_add_co_i32 s0, s60, -1
	s_add_co_i32 s59, s59, s53
	s_add_co_i32 s1, s1, s53
	;; [unrolled: 1-line block ×3, first 2 shown]
	s_cmp_lt_u32 s60, 2
	s_mov_b32 s60, s0
	s_cbranch_scc1 .LBB0_2
.LBB0_59:                               ;   Parent Loop BB0_3 Depth=1
                                        ; =>  This Loop Header: Depth=2
                                        ;       Child Loop BB0_61 Depth 3
	s_cmp_le_i32 s18, s60
	s_cbranch_scc1 .LBB0_58
; %bb.60:                               ;   in Loop: Header=BB0_59 Depth=2
	s_ashr_i32 s21, s20, 31
	v_mov_b32_e32 v5, 0
	s_lshl_b64 s[22:23], s[20:21], 2
	s_mov_b32 s21, s1
	s_add_nc_u64 s[22:23], s[8:9], s[22:23]
	s_mov_b32 s61, s54
	s_mov_b32 s62, s59
	;; [unrolled: 1-line block ×3, first 2 shown]
.LBB0_61:                               ;   Parent Loop BB0_3 Depth=1
                                        ;     Parent Loop BB0_59 Depth=2
                                        ; =>    This Inner Loop Header: Depth=3
	scratch_load_b32 v11, off, s62
	scratch_load_b32 v12, off, s21
	;; [unrolled: 1-line block ×3, first 2 shown]
	s_load_b32 s64, s[22:23], 0x0
	s_add_co_i32 s63, s63, -1
	s_add_co_i32 s62, s62, -4
	;; [unrolled: 1-line block ×3, first 2 shown]
	s_wait_xcnt 0x0
	s_add_nc_u64 s[22:23], s[22:23], -4
	s_wait_loadcnt 0x2
	v_fma_f32 v15, s16, v11, 1.0
	s_wait_loadcnt 0x1
	s_wait_kmcnt 0x0
	v_mul_f32_e32 v16, s64, v12
	v_div_scale_f32 v17, null, v11, v11, v12
	v_div_scale_f32 v19, s0, v12, v11, v12
	v_div_scale_f32 v18, null, v15, v15, s16
	s_wait_loadcnt 0x0
	v_fmac_f32_e32 v5, v16, v10
	v_rcp_f32_e32 v20, v17
	v_div_scale_f32 v21, vcc_lo, s16, v15, s16
	v_rcp_f32_e32 v16, v18
	s_delay_alu instid0(TRANS32_DEP_2) | instskip(NEXT) | instid1(TRANS32_DEP_1)
	v_fma_f32 v24, -v17, v20, 1.0
	v_fma_f32 v23, -v18, v16, 1.0
	s_delay_alu instid0(VALU_DEP_1) | instskip(NEXT) | instid1(VALU_DEP_1)
	v_dual_fmac_f32 v16, v23, v16 :: v_dual_mul_f32 v22, s64, v5
	v_mul_f32_e32 v23, v21, v16
	s_delay_alu instid0(VALU_DEP_1) | instskip(NEXT) | instid1(VALU_DEP_1)
	v_dual_fmac_f32 v20, v24, v20 :: v_dual_fma_f32 v25, -v18, v23, v21
	v_fmac_f32_e32 v23, v25, v16
	s_delay_alu instid0(VALU_DEP_1) | instskip(NEXT) | instid1(VALU_DEP_1)
	v_dual_mul_f32 v24, v19, v20 :: v_dual_fma_f32 v18, -v18, v23, v21
	v_fma_f32 v26, -v17, v24, v19
	s_delay_alu instid0(VALU_DEP_2) | instskip(NEXT) | instid1(VALU_DEP_2)
	v_div_fmas_f32 v16, v18, v16, v23
	v_fmac_f32_e32 v24, v26, v20
	s_mov_b32 vcc_lo, s0
	s_delay_alu instid0(VALU_DEP_1) | instskip(NEXT) | instid1(VALU_DEP_1)
	v_fma_f32 v17, -v17, v24, v19
	v_div_fmas_f32 v18, v17, v20, v24
	v_div_fixup_f32 v17, v16, v15, s16
	s_delay_alu instid0(VALU_DEP_2) | instskip(NEXT) | instid1(VALU_DEP_2)
	v_div_fixup_f32 v16, v18, v11, v12
	v_mul_f32_e32 v11, v22, v17
	s_delay_alu instid0(VALU_DEP_1) | instskip(NEXT) | instid1(VALU_DEP_1)
	v_pk_mul_f32 v[10:11], v[10:11], v[16:17]
	v_add_f32_e32 v10, v10, v11
	scratch_store_b32 off, v10, s61
	s_wait_xcnt 0x0
	s_add_co_i32 s61, s61, -4
	s_cmp_le_u32 s63, s60
	s_cbranch_scc0 .LBB0_61
	s_branch .LBB0_58
.LBB0_62:
	s_endpgm
	.section	.rodata,"a",@progbits
	.p2align	6, 0x0
	.amdhsa_kernel _Z28Pathcalc_Portfolio_KernelGPUPfS_PKfPKiS1_fiii
		.amdhsa_group_segment_fixed_size 0
		.amdhsa_private_segment_fixed_size 14416
		.amdhsa_kernarg_size 312
		.amdhsa_user_sgpr_count 2
		.amdhsa_user_sgpr_dispatch_ptr 0
		.amdhsa_user_sgpr_queue_ptr 0
		.amdhsa_user_sgpr_kernarg_segment_ptr 1
		.amdhsa_user_sgpr_dispatch_id 0
		.amdhsa_user_sgpr_kernarg_preload_length 0
		.amdhsa_user_sgpr_kernarg_preload_offset 0
		.amdhsa_user_sgpr_private_segment_size 0
		.amdhsa_wavefront_size32 1
		.amdhsa_uses_dynamic_stack 0
		.amdhsa_enable_private_segment 1
		.amdhsa_system_sgpr_workgroup_id_x 1
		.amdhsa_system_sgpr_workgroup_id_y 0
		.amdhsa_system_sgpr_workgroup_id_z 0
		.amdhsa_system_sgpr_workgroup_info 0
		.amdhsa_system_vgpr_workitem_id 0
		.amdhsa_next_free_vgpr 27
		.amdhsa_next_free_sgpr 65
		.amdhsa_named_barrier_count 0
		.amdhsa_reserve_vcc 1
		.amdhsa_float_round_mode_32 0
		.amdhsa_float_round_mode_16_64 0
		.amdhsa_float_denorm_mode_32 3
		.amdhsa_float_denorm_mode_16_64 3
		.amdhsa_fp16_overflow 0
		.amdhsa_memory_ordered 1
		.amdhsa_forward_progress 1
		.amdhsa_inst_pref_size 31
		.amdhsa_round_robin_scheduling 0
		.amdhsa_exception_fp_ieee_invalid_op 0
		.amdhsa_exception_fp_denorm_src 0
		.amdhsa_exception_fp_ieee_div_zero 0
		.amdhsa_exception_fp_ieee_overflow 0
		.amdhsa_exception_fp_ieee_underflow 0
		.amdhsa_exception_fp_ieee_inexact 0
		.amdhsa_exception_int_div_zero 0
	.end_amdhsa_kernel
	.text
.Lfunc_end0:
	.size	_Z28Pathcalc_Portfolio_KernelGPUPfS_PKfPKiS1_fiii, .Lfunc_end0-_Z28Pathcalc_Portfolio_KernelGPUPfS_PKfPKiS1_fiii
                                        ; -- End function
	.set _Z28Pathcalc_Portfolio_KernelGPUPfS_PKfPKiS1_fiii.num_vgpr, 27
	.set _Z28Pathcalc_Portfolio_KernelGPUPfS_PKfPKiS1_fiii.num_agpr, 0
	.set _Z28Pathcalc_Portfolio_KernelGPUPfS_PKfPKiS1_fiii.numbered_sgpr, 65
	.set _Z28Pathcalc_Portfolio_KernelGPUPfS_PKfPKiS1_fiii.num_named_barrier, 0
	.set _Z28Pathcalc_Portfolio_KernelGPUPfS_PKfPKiS1_fiii.private_seg_size, 14416
	.set _Z28Pathcalc_Portfolio_KernelGPUPfS_PKfPKiS1_fiii.uses_vcc, 1
	.set _Z28Pathcalc_Portfolio_KernelGPUPfS_PKfPKiS1_fiii.uses_flat_scratch, 1
	.set _Z28Pathcalc_Portfolio_KernelGPUPfS_PKfPKiS1_fiii.has_dyn_sized_stack, 0
	.set _Z28Pathcalc_Portfolio_KernelGPUPfS_PKfPKiS1_fiii.has_recursion, 0
	.set _Z28Pathcalc_Portfolio_KernelGPUPfS_PKfPKiS1_fiii.has_indirect_call, 0
	.section	.AMDGPU.csdata,"",@progbits
; Kernel info:
; codeLenInByte = 3900
; TotalNumSgprs: 67
; NumVgprs: 27
; ScratchSize: 14416
; MemoryBound: 0
; FloatMode: 240
; IeeeMode: 1
; LDSByteSize: 0 bytes/workgroup (compile time only)
; SGPRBlocks: 0
; VGPRBlocks: 1
; NumSGPRsForWavesPerEU: 67
; NumVGPRsForWavesPerEU: 27
; NamedBarCnt: 0
; Occupancy: 16
; WaveLimiterHint : 0
; COMPUTE_PGM_RSRC2:SCRATCH_EN: 1
; COMPUTE_PGM_RSRC2:USER_SGPR: 2
; COMPUTE_PGM_RSRC2:TRAP_HANDLER: 0
; COMPUTE_PGM_RSRC2:TGID_X_EN: 1
; COMPUTE_PGM_RSRC2:TGID_Y_EN: 0
; COMPUTE_PGM_RSRC2:TGID_Z_EN: 0
; COMPUTE_PGM_RSRC2:TIDIG_COMP_CNT: 0
	.text
	.protected	_Z29Pathcalc_Portfolio_KernelGPU2PfPKfPKiS1_fiii ; -- Begin function _Z29Pathcalc_Portfolio_KernelGPU2PfPKfPKiS1_fiii
	.globl	_Z29Pathcalc_Portfolio_KernelGPU2PfPKfPKiS1_fiii
	.p2align	8
	.type	_Z29Pathcalc_Portfolio_KernelGPU2PfPKfPKiS1_fiii,@function
_Z29Pathcalc_Portfolio_KernelGPU2PfPKfPKiS1_fiii: ; @_Z29Pathcalc_Portfolio_KernelGPU2PfPKfPKiS1_fiii
; %bb.0:
	s_load_b32 s2, s[0:1], 0x3c
	s_bfe_u32 s3, ttmp6, 0x4000c
	s_and_b32 s4, ttmp6, 15
	s_add_co_i32 s3, s3, 1
	s_getreg_b32 s5, hwreg(HW_REG_IB_STS2, 6, 4)
	s_mul_i32 s3, ttmp9, s3
	s_mov_b32 s18, 0
	s_add_co_i32 s4, s4, s3
	s_wait_kmcnt 0x0
	s_and_b32 s14, s2, 0xffff
	s_cmp_eq_u32 s5, 0
	s_cselect_b32 s2, ttmp9, s4
	s_delay_alu instid0(SALU_CYCLE_1) | instskip(SKIP_1) | instid1(VALU_DEP_1)
	v_mad_u32 v6, s2, s14, v0
	s_mov_b32 s2, exec_lo
	v_cmpx_gt_i32_e32 0x17700, v6
	s_cbranch_execz .LBB1_26
; %bb.1:
	s_load_b256 s[4:11], s[0:1], 0x10
	v_mov_b64_e32 v[0:1], 0x3e99999a3e99999a
	v_mov_b64_e32 v[2:3], 0x3d4ccccd3d4ccccd
	v_mov_b32_e32 v7, 0x3e99999a
	v_mov_b32_e32 v8, 0x3d4ccccd
	s_wait_kmcnt 0x0
	s_mul_f32 s2, s8, 0x4f800000
	s_cmp_lt_f32 s8, 0xf800000
	s_delay_alu instid0(SALU_CYCLE_2) | instskip(NEXT) | instid1(SALU_CYCLE_1)
	s_cselect_b32 s15, s2, s8
	v_s_sqrt_f32 s12, s15
	s_mov_b32 s2, s15
	s_mov_b32 s17, s15
	s_delay_alu instid0(TRANS32_DEP_1) | instskip(NEXT) | instid1(SALU_CYCLE_1)
	s_add_co_i32 s13, s12, -1
	s_xor_b32 s3, s13, 0x80000000
	s_delay_alu instid0(SALU_CYCLE_1) | instskip(NEXT) | instid1(SALU_CYCLE_3)
	s_fmac_f32 s2, s3, s12
	s_cmp_le_f32 s2, 0
	s_add_nc_u64 s[2:3], s[0:1], 48
	s_load_b32 s20, s[2:3], 0x0
	s_cselect_b32 s13, s13, s12
	s_add_co_i32 s16, s12, 1
	s_wait_xcnt 0x0
	s_load_b128 s[0:3], s[0:1], 0x0
	s_xor_b32 s19, s16, 0x80000000
	s_delay_alu instid0(SALU_CYCLE_1) | instskip(SKIP_1) | instid1(SALU_CYCLE_2)
	s_fmac_f32 s17, s19, s12
	s_mov_b32 s12, s8
	s_cmp_gt_f32 s17, 0
	s_cselect_b32 s16, s16, s13
	s_cmp_lt_f32 s8, 0xf800000
	s_mul_f32 s17, s16, 0x37800000
	s_mov_b32 s13, s8
	s_delay_alu instid0(SALU_CYCLE_2)
	s_cselect_b32 s16, s17, s16
	v_cmp_class_f32_e64 s17, s15, 0x260
	s_cmp_gt_i32 s10, 0
	s_wait_kmcnt 0x0
	s_mul_i32 s20, s20, s14
	s_cselect_b32 s19, -1, 0
	s_cmp_gt_i32 s9, 0
	s_cselect_b32 s21, -1, 0
	s_and_b32 s14, s17, exec_lo
	s_cselect_b32 s22, s15, s16
	s_cmp_lt_i32 s9, s10
	s_cselect_b32 s23, -1, 0
	s_cmp_gt_i32 s11, 0
	s_cselect_b32 s24, -1, 0
	s_cmp_lg_u32 s10, 1
	s_cselect_b32 s25, -1, 0
	s_and_b32 s26, s10, 0x7ffffffe
	s_delay_alu instid0(SALU_CYCLE_1)
	s_cmp_lg_u32 s10, s26
	s_cselect_b32 s27, -1, 0
	s_lshl_b32 s14, s9, 2
	s_or_b32 s28, 0x140, 4
	s_add_co_i32 s29, s10, -1
	s_add_co_i32 s30, s14, 0x140
	s_branch .LBB1_3
.LBB1_2:                                ;   in Loop: Header=BB1_3 Depth=1
	s_delay_alu instid0(VALU_DEP_1) | instskip(SKIP_3) | instid1(VALU_DEP_1)
	v_mul_f32_e32 v4, v4, v5
	global_store_b32 v6, v4, s[0:1] scale_offset
	s_wait_xcnt 0x0
	v_add_nc_u32_e32 v6, s20, v6
	v_cmp_lt_i32_e32 vcc_lo, 0x176ff, v6
	s_or_b32 s18, vcc_lo, s18
	s_delay_alu instid0(SALU_CYCLE_1)
	s_and_not1_b32 exec_lo, exec_lo, s18
	s_cbranch_execz .LBB1_26
.LBB1_3:                                ; =>This Loop Header: Depth=1
                                        ;     Child Loop BB1_6 Depth 2
                                        ;     Child Loop BB1_10 Depth 2
	;; [unrolled: 1-line block ×3, first 2 shown]
                                        ;       Child Loop BB1_16 Depth 3
                                        ;     Child Loop BB1_19 Depth 2
                                        ;     Child Loop BB1_22 Depth 2
	;; [unrolled: 1-line block ×3, first 2 shown]
	s_and_not1_b32 vcc_lo, exec_lo, s19
	s_cbranch_vccnz .LBB1_11
; %bb.4:                                ;   in Loop: Header=BB1_3 Depth=1
	s_and_not1_b32 vcc_lo, exec_lo, s25
	s_cbranch_vccnz .LBB1_8
; %bb.5:                                ;   in Loop: Header=BB1_3 Depth=1
	s_movk_i32 s14, 0x140
	s_movk_i32 s15, 0x280
	s_mov_b32 s17, s26
.LBB1_6:                                ;   Parent Loop BB1_3 Depth=1
                                        ; =>  This Inner Loop Header: Depth=2
	s_delay_alu instid0(SALU_CYCLE_1)
	s_add_co_i32 s17, s17, -2
	scratch_store_b64 off, v[0:1], s15
	scratch_store_b64 off, v[2:3], s14
	s_wait_xcnt 0x0
	s_add_co_i32 s14, s14, 8
	s_add_co_i32 s15, s15, 8
	s_mov_b32 s16, s26
	s_cmp_lg_u32 s17, 0
	s_mov_b32 s31, s27
	s_cbranch_scc1 .LBB1_6
; %bb.7:                                ;   in Loop: Header=BB1_3 Depth=1
	s_and_b32 vcc_lo, exec_lo, s31
	s_cbranch_vccnz .LBB1_9
	s_branch .LBB1_11
.LBB1_8:                                ;   in Loop: Header=BB1_3 Depth=1
	s_mov_b32 s16, 0
	s_cbranch_execz .LBB1_11
.LBB1_9:                                ;   in Loop: Header=BB1_3 Depth=1
	s_lshl_b32 s17, s16, 2
	s_sub_co_i32 s14, s10, s16
	s_add_co_i32 s15, s17, 0x280
	s_add_co_i32 s16, s17, 0x140
.LBB1_10:                               ;   Parent Loop BB1_3 Depth=1
                                        ; =>  This Inner Loop Header: Depth=2
	s_add_co_i32 s14, s14, -1
	scratch_store_b32 off, v7, s15
	scratch_store_b32 off, v8, s16
	s_wait_xcnt 0x1
	s_add_co_i32 s15, s15, 4
	s_wait_xcnt 0x0
	s_add_co_i32 s16, s16, 4
	s_cmp_lg_u32 s14, 0
	s_cbranch_scc1 .LBB1_10
.LBB1_11:                               ;   in Loop: Header=BB1_3 Depth=1
	s_and_not1_b32 vcc_lo, exec_lo, s21
	s_cbranch_vccnz .LBB1_17
; %bb.12:                               ;   in Loop: Header=BB1_3 Depth=1
	s_mov_b32 s17, 0
	s_mov_b32 s16, s29
	;; [unrolled: 1-line block ×3, first 2 shown]
	s_branch .LBB1_14
.LBB1_13:                               ;   in Loop: Header=BB1_14 Depth=2
	s_add_co_i32 s31, s31, 4
	s_add_co_i32 s16, s16, -1
	s_cmp_eq_u32 s17, s9
	s_cbranch_scc1 .LBB1_17
.LBB1_14:                               ;   Parent Loop BB1_3 Depth=1
                                        ; =>  This Loop Header: Depth=2
                                        ;       Child Loop BB1_16 Depth 3
	s_mov_b32 s14, s17
	s_add_co_i32 s17, s17, 1
	s_delay_alu instid0(SALU_CYCLE_1)
	s_cmp_ge_i32 s17, s10
	s_cbranch_scc1 .LBB1_13
; %bb.15:                               ;   in Loop: Header=BB1_14 Depth=2
	s_lshl_b32 s14, s14, 2
	s_mov_b32 s33, s16
	s_addk_co_i32 s14, 0x280
	s_mov_b32 s34, s31
	scratch_load_b32 v4, off, s14
	s_wait_xcnt 0x0
	s_mov_b64 s[14:15], s[2:3]
	s_wait_loadcnt 0x0
	v_dual_mov_b32 v5, 0 :: v_dual_mul_f32 v9, s22, v4
.LBB1_16:                               ;   Parent Loop BB1_3 Depth=1
                                        ;     Parent Loop BB1_14 Depth=2
                                        ; =>    This Inner Loop Header: Depth=3
	scratch_load_b32 v11, off, s34
	s_load_b32 s35, s[14:15], 0x0
	v_mov_b64_e32 v[12:13], s[12:13]
	s_add_co_i32 s33, s33, -1
	s_wait_xcnt 0x0
	s_add_nc_u64 s[14:15], s[14:15], 4
	s_wait_kmcnt 0x0
	v_mov_b32_e32 v10, s35
	s_wait_loadcnt 0x0
	s_delay_alu instid0(VALU_DEP_1) | instskip(NEXT) | instid1(VALU_DEP_1)
	v_pk_mul_f32 v[12:13], v[12:13], v[10:11]
	v_dual_mul_f32 v4, v12, v11 :: v_dual_add_f32 v13, 1.0, v13
	s_delay_alu instid0(VALU_DEP_1) | instskip(NEXT) | instid1(VALU_DEP_1)
	v_div_scale_f32 v14, null, v13, v13, v4
	v_rcp_f32_e32 v15, v14
	v_nop
	s_delay_alu instid0(TRANS32_DEP_1) | instskip(NEXT) | instid1(VALU_DEP_1)
	v_fma_f32 v16, -v14, v15, 1.0
	v_fmac_f32_e32 v15, v16, v15
	v_div_scale_f32 v17, vcc_lo, v4, v13, v4
	s_delay_alu instid0(VALU_DEP_1) | instskip(NEXT) | instid1(VALU_DEP_1)
	v_mul_f32_e32 v16, v17, v15
	v_fma_f32 v18, -v14, v16, v17
	s_delay_alu instid0(VALU_DEP_1) | instskip(NEXT) | instid1(VALU_DEP_1)
	v_fmac_f32_e32 v16, v18, v15
	v_fma_f32 v14, -v14, v16, v17
	s_delay_alu instid0(VALU_DEP_1) | instskip(NEXT) | instid1(VALU_DEP_1)
	v_div_fmas_f32 v14, v14, v15, v16
	v_div_fixup_f32 v13, v14, v13, v4
	v_dual_mov_b32 v14, s35 :: v_dual_fma_f32 v4, -0.5, v12, v9
	s_delay_alu instid0(VALU_DEP_2) | instskip(NEXT) | instid1(VALU_DEP_1)
	v_dual_mov_b32 v15, v12 :: v_dual_add_f32 v5, v5, v13
	v_pk_mul_f32 v[12:13], v[14:15], v[4:5]
	s_delay_alu instid0(VALU_DEP_1) | instskip(NEXT) | instid1(VALU_DEP_1)
	v_add_f32_e32 v4, v12, v13
	v_mul_f32_e32 v4, 0x3fb8aa3b, v4
	s_delay_alu instid0(VALU_DEP_1) | instskip(SKIP_1) | instid1(TRANS32_DEP_1)
	v_exp_f32_e32 v4, v4
	v_nop
	v_mul_f32_e32 v4, v11, v4
	scratch_store_b32 off, v4, s34
	s_wait_xcnt 0x0
	s_add_co_i32 s34, s34, 4
	s_cmp_eq_u32 s33, 0
	s_cbranch_scc0 .LBB1_16
	s_branch .LBB1_13
.LBB1_17:                               ;   in Loop: Header=BB1_3 Depth=1
	s_and_not1_b32 vcc_lo, exec_lo, s23
	s_cbranch_vccnz .LBB1_20
; %bb.18:                               ;   in Loop: Header=BB1_3 Depth=1
	v_dual_mov_b32 v4, 1.0 :: v_dual_mov_b32 v5, 0
	s_movk_i32 s14, 0xa0
	s_mov_b32 s15, 0
	s_mov_b32 s16, s30
	;; [unrolled: 1-line block ×3, first 2 shown]
.LBB1_19:                               ;   Parent Loop BB1_3 Depth=1
                                        ; =>  This Inner Loop Header: Depth=2
	scratch_load_b32 v9, off, s16
	s_add_co_i32 s17, s17, 1
	s_wait_xcnt 0x0
	s_add_co_i32 s16, s16, 4
	s_wait_loadcnt 0x0
	v_fma_f32 v9, s8, v9, 1.0
	s_delay_alu instid0(VALU_DEP_1) | instskip(SKIP_1) | instid1(VALU_DEP_2)
	v_div_scale_f32 v10, null, v9, v9, v4
	v_div_scale_f32 v13, vcc_lo, v4, v9, v4
	v_rcp_f32_e32 v11, v10
	v_nop
	s_delay_alu instid0(TRANS32_DEP_1) | instskip(NEXT) | instid1(VALU_DEP_1)
	v_fma_f32 v12, -v10, v11, 1.0
	v_fmac_f32_e32 v11, v12, v11
	s_delay_alu instid0(VALU_DEP_1) | instskip(NEXT) | instid1(VALU_DEP_1)
	v_mul_f32_e32 v12, v13, v11
	v_fma_f32 v14, -v10, v12, v13
	s_delay_alu instid0(VALU_DEP_1) | instskip(NEXT) | instid1(VALU_DEP_1)
	v_fmac_f32_e32 v12, v14, v11
	v_fma_f32 v10, -v10, v12, v13
	s_delay_alu instid0(VALU_DEP_1) | instskip(NEXT) | instid1(VALU_DEP_1)
	v_div_fmas_f32 v10, v10, v11, v12
	v_div_fixup_f32 v4, v10, v9, v4
	s_delay_alu instid0(VALU_DEP_1)
	v_fmac_f32_e32 v5, s8, v4
	scratch_store_b32 off, v4, s15
	s_wait_xcnt 0x0
	s_add_co_i32 s15, s15, 4
	scratch_store_b32 off, v5, s14
	s_wait_xcnt 0x0
	s_add_co_i32 s14, s14, 4
	s_cmp_ge_i32 s17, s10
	s_cbranch_scc0 .LBB1_19
.LBB1_20:                               ;   in Loop: Header=BB1_3 Depth=1
	v_mov_b32_e32 v4, 0
	s_and_not1_b32 vcc_lo, exec_lo, s24
	s_cbranch_vccnz .LBB1_23
; %bb.21:                               ;   in Loop: Header=BB1_3 Depth=1
	s_mov_b64 s[14:15], s[6:7]
	s_mov_b64 s[16:17], s[4:5]
	s_mov_b32 s31, s11
.LBB1_22:                               ;   Parent Loop BB1_3 Depth=1
                                        ; =>  This Inner Loop Header: Depth=2
	s_load_b32 s33, s[16:17], 0x0
	s_add_co_i32 s31, s31, -1
	s_wait_xcnt 0x0
	s_add_nc_u64 s[16:17], s[16:17], 4
	s_wait_kmcnt 0x0
	s_lshl_b32 s33, s33, 2
	s_delay_alu instid0(SALU_CYCLE_1)
	s_mov_b32 s34, s33
	s_addk_co_i32 s33, 0xa0
	scratch_load_b32 v5, off, s34 offset:-4
	scratch_load_b32 v9, off, s33 offset:-4
	s_wait_xcnt 0x0
	s_load_b32 s33, s[14:15], 0x0
	s_cmp_eq_u32 s31, 0
	s_wait_xcnt 0x0
	s_add_nc_u64 s[14:15], s[14:15], 4
	s_wait_loadcnt 0x0
	s_wait_kmcnt 0x0
	v_fmac_f32_e32 v5, s33, v9
	s_delay_alu instid0(VALU_DEP_1) | instskip(NEXT) | instid1(VALU_DEP_1)
	v_add_f32_e32 v5, -1.0, v5
	v_fmamk_f32 v9, v5, 0xc2c80000, v4
	v_cmp_gt_f32_e32 vcc_lo, 0, v5
	s_delay_alu instid0(VALU_DEP_2)
	v_cndmask_b32_e32 v4, v4, v9, vcc_lo
	s_cbranch_scc0 .LBB1_22
.LBB1_23:                               ;   in Loop: Header=BB1_3 Depth=1
	v_mov_b32_e32 v5, 1.0
	s_and_not1_b32 vcc_lo, exec_lo, s21
	s_cbranch_vccnz .LBB1_2
; %bb.24:                               ;   in Loop: Header=BB1_3 Depth=1
	s_movk_i32 s14, 0x140
	s_mov_b32 s15, s9
.LBB1_25:                               ;   Parent Loop BB1_3 Depth=1
                                        ; =>  This Inner Loop Header: Depth=2
	scratch_load_b32 v9, off, s14
	s_add_co_i32 s15, s15, -1
	s_wait_xcnt 0x0
	s_add_co_i32 s14, s14, 4
	s_cmp_lg_u32 s15, 0
	s_wait_loadcnt 0x0
	v_fma_f32 v9, s8, v9, 1.0
	s_delay_alu instid0(VALU_DEP_1) | instskip(SKIP_1) | instid1(VALU_DEP_2)
	v_div_scale_f32 v10, null, v9, v9, v5
	v_div_scale_f32 v13, vcc_lo, v5, v9, v5
	v_rcp_f32_e32 v11, v10
	v_nop
	s_delay_alu instid0(TRANS32_DEP_1) | instskip(NEXT) | instid1(VALU_DEP_1)
	v_fma_f32 v12, -v10, v11, 1.0
	v_fmac_f32_e32 v11, v12, v11
	s_delay_alu instid0(VALU_DEP_1) | instskip(NEXT) | instid1(VALU_DEP_1)
	v_mul_f32_e32 v12, v13, v11
	v_fma_f32 v14, -v10, v12, v13
	s_delay_alu instid0(VALU_DEP_1) | instskip(NEXT) | instid1(VALU_DEP_1)
	v_fmac_f32_e32 v12, v14, v11
	v_fma_f32 v10, -v10, v12, v13
	s_delay_alu instid0(VALU_DEP_1) | instskip(NEXT) | instid1(VALU_DEP_1)
	v_div_fmas_f32 v10, v10, v11, v12
	v_div_fixup_f32 v5, v10, v9, v5
	s_cbranch_scc1 .LBB1_25
	s_branch .LBB1_2
.LBB1_26:
	s_endpgm
	.section	.rodata,"a",@progbits
	.p2align	6, 0x0
	.amdhsa_kernel _Z29Pathcalc_Portfolio_KernelGPU2PfPKfPKiS1_fiii
		.amdhsa_group_segment_fixed_size 0
		.amdhsa_private_segment_fixed_size 976
		.amdhsa_kernarg_size 304
		.amdhsa_user_sgpr_count 2
		.amdhsa_user_sgpr_dispatch_ptr 0
		.amdhsa_user_sgpr_queue_ptr 0
		.amdhsa_user_sgpr_kernarg_segment_ptr 1
		.amdhsa_user_sgpr_dispatch_id 0
		.amdhsa_user_sgpr_kernarg_preload_length 0
		.amdhsa_user_sgpr_kernarg_preload_offset 0
		.amdhsa_user_sgpr_private_segment_size 0
		.amdhsa_wavefront_size32 1
		.amdhsa_uses_dynamic_stack 0
		.amdhsa_enable_private_segment 1
		.amdhsa_system_sgpr_workgroup_id_x 1
		.amdhsa_system_sgpr_workgroup_id_y 0
		.amdhsa_system_sgpr_workgroup_id_z 0
		.amdhsa_system_sgpr_workgroup_info 0
		.amdhsa_system_vgpr_workitem_id 0
		.amdhsa_next_free_vgpr 19
		.amdhsa_next_free_sgpr 36
		.amdhsa_named_barrier_count 0
		.amdhsa_reserve_vcc 1
		.amdhsa_float_round_mode_32 0
		.amdhsa_float_round_mode_16_64 0
		.amdhsa_float_denorm_mode_32 3
		.amdhsa_float_denorm_mode_16_64 3
		.amdhsa_fp16_overflow 0
		.amdhsa_memory_ordered 1
		.amdhsa_forward_progress 1
		.amdhsa_inst_pref_size 13
		.amdhsa_round_robin_scheduling 0
		.amdhsa_exception_fp_ieee_invalid_op 0
		.amdhsa_exception_fp_denorm_src 0
		.amdhsa_exception_fp_ieee_div_zero 0
		.amdhsa_exception_fp_ieee_overflow 0
		.amdhsa_exception_fp_ieee_underflow 0
		.amdhsa_exception_fp_ieee_inexact 0
		.amdhsa_exception_int_div_zero 0
	.end_amdhsa_kernel
	.text
.Lfunc_end1:
	.size	_Z29Pathcalc_Portfolio_KernelGPU2PfPKfPKiS1_fiii, .Lfunc_end1-_Z29Pathcalc_Portfolio_KernelGPU2PfPKfPKiS1_fiii
                                        ; -- End function
	.set _Z29Pathcalc_Portfolio_KernelGPU2PfPKfPKiS1_fiii.num_vgpr, 19
	.set _Z29Pathcalc_Portfolio_KernelGPU2PfPKfPKiS1_fiii.num_agpr, 0
	.set _Z29Pathcalc_Portfolio_KernelGPU2PfPKfPKiS1_fiii.numbered_sgpr, 36
	.set _Z29Pathcalc_Portfolio_KernelGPU2PfPKfPKiS1_fiii.num_named_barrier, 0
	.set _Z29Pathcalc_Portfolio_KernelGPU2PfPKfPKiS1_fiii.private_seg_size, 976
	.set _Z29Pathcalc_Portfolio_KernelGPU2PfPKfPKiS1_fiii.uses_vcc, 1
	.set _Z29Pathcalc_Portfolio_KernelGPU2PfPKfPKiS1_fiii.uses_flat_scratch, 0
	.set _Z29Pathcalc_Portfolio_KernelGPU2PfPKfPKiS1_fiii.has_dyn_sized_stack, 0
	.set _Z29Pathcalc_Portfolio_KernelGPU2PfPKfPKiS1_fiii.has_recursion, 0
	.set _Z29Pathcalc_Portfolio_KernelGPU2PfPKfPKiS1_fiii.has_indirect_call, 0
	.section	.AMDGPU.csdata,"",@progbits
; Kernel info:
; codeLenInByte = 1568
; TotalNumSgprs: 38
; NumVgprs: 19
; ScratchSize: 976
; MemoryBound: 0
; FloatMode: 240
; IeeeMode: 1
; LDSByteSize: 0 bytes/workgroup (compile time only)
; SGPRBlocks: 0
; VGPRBlocks: 1
; NumSGPRsForWavesPerEU: 38
; NumVGPRsForWavesPerEU: 19
; NamedBarCnt: 0
; Occupancy: 16
; WaveLimiterHint : 0
; COMPUTE_PGM_RSRC2:SCRATCH_EN: 1
; COMPUTE_PGM_RSRC2:USER_SGPR: 2
; COMPUTE_PGM_RSRC2:TRAP_HANDLER: 0
; COMPUTE_PGM_RSRC2:TGID_X_EN: 1
; COMPUTE_PGM_RSRC2:TGID_Y_EN: 0
; COMPUTE_PGM_RSRC2:TGID_Z_EN: 0
; COMPUTE_PGM_RSRC2:TIDIG_COMP_CNT: 0
	.text
	.p2alignl 7, 3214868480
	.fill 96, 4, 3214868480
	.section	.AMDGPU.gpr_maximums,"",@progbits
	.set amdgpu.max_num_vgpr, 0
	.set amdgpu.max_num_agpr, 0
	.set amdgpu.max_num_sgpr, 0
	.text
	.type	__hip_cuid_b113bc1e5fa31bbd,@object ; @__hip_cuid_b113bc1e5fa31bbd
	.section	.bss,"aw",@nobits
	.globl	__hip_cuid_b113bc1e5fa31bbd
__hip_cuid_b113bc1e5fa31bbd:
	.byte	0                               ; 0x0
	.size	__hip_cuid_b113bc1e5fa31bbd, 1

	.ident	"AMD clang version 22.0.0git (https://github.com/RadeonOpenCompute/llvm-project roc-7.2.4 26084 f58b06dce1f9c15707c5f808fd002e18c2accf7e)"
	.section	".note.GNU-stack","",@progbits
	.addrsig
	.addrsig_sym __hip_cuid_b113bc1e5fa31bbd
	.amdgpu_metadata
---
amdhsa.kernels:
  - .args:
      - .actual_access:  write_only
        .address_space:  global
        .offset:         0
        .size:           8
        .value_kind:     global_buffer
      - .actual_access:  write_only
        .address_space:  global
        .offset:         8
        .size:           8
        .value_kind:     global_buffer
      - .actual_access:  read_only
        .address_space:  global
        .offset:         16
        .size:           8
        .value_kind:     global_buffer
      - .actual_access:  read_only
        .address_space:  global
        .offset:         24
        .size:           8
        .value_kind:     global_buffer
      - .actual_access:  read_only
        .address_space:  global
        .offset:         32
        .size:           8
        .value_kind:     global_buffer
      - .offset:         40
        .size:           4
        .value_kind:     by_value
      - .offset:         44
        .size:           4
        .value_kind:     by_value
      - .offset:         48
        .size:           4
        .value_kind:     by_value
      - .offset:         52
        .size:           4
        .value_kind:     by_value
      - .offset:         56
        .size:           4
        .value_kind:     hidden_block_count_x
      - .offset:         60
        .size:           4
        .value_kind:     hidden_block_count_y
      - .offset:         64
        .size:           4
        .value_kind:     hidden_block_count_z
      - .offset:         68
        .size:           2
        .value_kind:     hidden_group_size_x
      - .offset:         70
        .size:           2
        .value_kind:     hidden_group_size_y
      - .offset:         72
        .size:           2
        .value_kind:     hidden_group_size_z
      - .offset:         74
        .size:           2
        .value_kind:     hidden_remainder_x
      - .offset:         76
        .size:           2
        .value_kind:     hidden_remainder_y
      - .offset:         78
        .size:           2
        .value_kind:     hidden_remainder_z
      - .offset:         96
        .size:           8
        .value_kind:     hidden_global_offset_x
      - .offset:         104
        .size:           8
        .value_kind:     hidden_global_offset_y
      - .offset:         112
        .size:           8
        .value_kind:     hidden_global_offset_z
      - .offset:         120
        .size:           2
        .value_kind:     hidden_grid_dims
    .group_segment_fixed_size: 0
    .kernarg_segment_align: 8
    .kernarg_segment_size: 312
    .language:       OpenCL C
    .language_version:
      - 2
      - 0
    .max_flat_workgroup_size: 1024
    .name:           _Z28Pathcalc_Portfolio_KernelGPUPfS_PKfPKiS1_fiii
    .private_segment_fixed_size: 14416
    .sgpr_count:     67
    .sgpr_spill_count: 0
    .symbol:         _Z28Pathcalc_Portfolio_KernelGPUPfS_PKfPKiS1_fiii.kd
    .uniform_work_group_size: 1
    .uses_dynamic_stack: false
    .vgpr_count:     27
    .vgpr_spill_count: 0
    .wavefront_size: 32
  - .args:
      - .actual_access:  write_only
        .address_space:  global
        .offset:         0
        .size:           8
        .value_kind:     global_buffer
      - .actual_access:  read_only
        .address_space:  global
        .offset:         8
        .size:           8
        .value_kind:     global_buffer
      - .actual_access:  read_only
        .address_space:  global
        .offset:         16
        .size:           8
        .value_kind:     global_buffer
      - .actual_access:  read_only
        .address_space:  global
        .offset:         24
        .size:           8
        .value_kind:     global_buffer
      - .offset:         32
        .size:           4
        .value_kind:     by_value
      - .offset:         36
        .size:           4
        .value_kind:     by_value
      - .offset:         40
        .size:           4
        .value_kind:     by_value
      - .offset:         44
        .size:           4
        .value_kind:     by_value
      - .offset:         48
        .size:           4
        .value_kind:     hidden_block_count_x
      - .offset:         52
        .size:           4
        .value_kind:     hidden_block_count_y
      - .offset:         56
        .size:           4
        .value_kind:     hidden_block_count_z
      - .offset:         60
        .size:           2
        .value_kind:     hidden_group_size_x
      - .offset:         62
        .size:           2
        .value_kind:     hidden_group_size_y
      - .offset:         64
        .size:           2
        .value_kind:     hidden_group_size_z
      - .offset:         66
        .size:           2
        .value_kind:     hidden_remainder_x
      - .offset:         68
        .size:           2
        .value_kind:     hidden_remainder_y
      - .offset:         70
        .size:           2
        .value_kind:     hidden_remainder_z
      - .offset:         88
        .size:           8
        .value_kind:     hidden_global_offset_x
      - .offset:         96
        .size:           8
        .value_kind:     hidden_global_offset_y
      - .offset:         104
        .size:           8
        .value_kind:     hidden_global_offset_z
      - .offset:         112
        .size:           2
        .value_kind:     hidden_grid_dims
    .group_segment_fixed_size: 0
    .kernarg_segment_align: 8
    .kernarg_segment_size: 304
    .language:       OpenCL C
    .language_version:
      - 2
      - 0
    .max_flat_workgroup_size: 1024
    .name:           _Z29Pathcalc_Portfolio_KernelGPU2PfPKfPKiS1_fiii
    .private_segment_fixed_size: 976
    .sgpr_count:     38
    .sgpr_spill_count: 0
    .symbol:         _Z29Pathcalc_Portfolio_KernelGPU2PfPKfPKiS1_fiii.kd
    .uniform_work_group_size: 1
    .uses_dynamic_stack: false
    .vgpr_count:     19
    .vgpr_spill_count: 0
    .wavefront_size: 32
amdhsa.target:   amdgcn-amd-amdhsa--gfx1250
amdhsa.version:
  - 1
  - 2
...

	.end_amdgpu_metadata
